;; amdgpu-corpus repo=vllm-project/vllm kind=compiled arch=gfx950 opt=O3
	.amdgcn_target "amdgcn-amd-amdhsa--gfx950"
	.amdhsa_code_object_version 6
	.text
	.protected	_Z19permute_cols_kernelPK15HIP_vector_typeIiLj4EEPKiPS0_iii ; -- Begin function _Z19permute_cols_kernelPK15HIP_vector_typeIiLj4EEPKiPS0_iii
	.globl	_Z19permute_cols_kernelPK15HIP_vector_typeIiLj4EEPKiPS0_iii
	.p2align	8
	.type	_Z19permute_cols_kernelPK15HIP_vector_typeIiLj4EEPKiPS0_iii,@function
_Z19permute_cols_kernelPK15HIP_vector_typeIiLj4EEPKiPS0_iii: ; @_Z19permute_cols_kernelPK15HIP_vector_typeIiLj4EEPKiPS0_iii
; %bb.0:
	s_load_dwordx4 s[8:11], s[0:1], 0x18
	s_waitcnt lgkmcnt(0)
	s_mul_i32 s22, s10, s2
	s_add_i32 s2, s22, s10
	s_min_i32 s2, s2, s8
	s_sub_i32 s23, s2, s22
	s_cmp_lt_i32 s23, 1
	s_cbranch_scc1 .LBB0_15
; %bb.1:
	s_load_dwordx4 s[4:7], s[0:1], 0x0
	s_load_dwordx2 s[10:11], s[0:1], 0x10
	s_ashr_i32 s0, s9, 31
	s_lshr_b32 s0, s0, 24
	s_add_i32 s0, s9, s0
	s_ashr_i32 s25, s0, 8
	s_and_b32 s0, s0, 0xffffff00
	s_ashr_i32 s24, s9, 3
	s_sub_i32 s0, s9, s0
	s_cmpk_gt_i32 s9, 0xff
	s_cselect_b64 s[2:3], -1, 0
	s_add_i32 s14, s25, -1
	s_cmp_gt_u32 s25, 13
	s_cselect_b64 s[12:13], -1, 0
	s_cmp_gt_u32 s14, 0xffffff
	v_lshl_add_u32 v1, s14, 8, v0
	s_cselect_b64 s[8:9], -1, 0
	v_cmp_lt_i32_e32 vcc, v1, v0
	s_or_b64 s[8:9], vcc, s[8:9]
	s_and_b32 s26, s25, 0x7ffffe
	s_xor_b64 s[14:15], s[8:9], -1
	s_lshl_b32 s27, s26, 8
	s_cmp_lg_u32 s25, s26
	v_cndmask_b32_e64 v2, 0, 1, s[2:3]
	v_cmp_gt_u32_e64 s[0:1], s0, v0
	v_mov_b32_e32 v1, v0
	s_cselect_b64 s[8:9], -1, 0
	s_and_b64 s[12:13], s[12:13], s[14:15]
	s_mov_b32 s28, 0
	v_cmp_ne_u32_e64 s[2:3], 1, v2
	s_branch .LBB0_3
.LBB0_2:                                ;   in Loop: Header=BB0_3 Depth=1
	s_or_b64 exec, exec, s[18:19]
	s_add_i32 s28, s28, 1
	s_cmp_le_i32 s23, s28
	s_cbranch_scc1 .LBB0_15
.LBB0_3:                                ; =>This Loop Header: Depth=1
                                        ;     Child Loop BB0_7 Depth 2
                                        ;     Child Loop BB0_11 Depth 2
	s_add_i32 s14, s28, s22
	s_mul_i32 s14, s14, s24
	s_ashr_i32 s15, s14, 31
	s_lshl_b64 s[16:17], s[14:15], 4
	s_waitcnt lgkmcnt(0)
	s_add_u32 s14, s4, s16
	s_addc_u32 s15, s5, s17
	s_add_u32 s16, s10, s16
	s_addc_u32 s17, s11, s17
	s_and_b64 vcc, exec, s[2:3]
	v_mov_b32_e32 v4, 0
	s_cbranch_vccz .LBB0_5
; %bb.4:                                ;   in Loop: Header=BB0_3 Depth=1
	s_and_saveexec_b64 s[18:19], s[0:1]
	s_cbranch_execz .LBB0_2
	s_branch .LBB0_14
.LBB0_5:                                ;   in Loop: Header=BB0_3 Depth=1
	s_mov_b64 s[20:21], -1
	v_mov_b32_e32 v3, 0
	v_mov_b32_e32 v2, 0
	s_and_saveexec_b64 s[18:19], s[12:13]
	s_cbranch_execz .LBB0_9
; %bb.6:                                ;   in Loop: Header=BB0_3 Depth=1
	s_movk_i32 s20, 0x100
	s_mov_b32 s21, 0
	s_mov_b32 s29, s26
.LBB0_7:                                ;   Parent Loop BB0_3 Depth=1
                                        ; =>  This Inner Loop Header: Depth=2
	v_add_u32_e32 v4, s20, v1
	v_add_u32_e32 v2, s21, v0
	v_ashrrev_i32_e32 v5, 31, v4
	v_ashrrev_i32_e32 v3, 31, v2
	v_lshl_add_u64 v[8:9], v[4:5], 2, s[6:7]
	v_lshl_add_u64 v[6:7], v[2:3], 2, s[6:7]
	global_load_dword v10, v[8:9], off
	global_load_dword v12, v[6:7], off
	s_addk_i32 s21, 0x200
	s_addk_i32 s20, 0x200
	s_add_i32 s29, s29, -2
	s_cmp_lg_u32 s29, 0
	v_lshl_add_u64 v[2:3], v[2:3], 1, s[16:17]
	v_lshl_add_u64 v[4:5], v[4:5], 1, s[16:17]
	s_waitcnt vmcnt(1)
	v_ashrrev_i32_e32 v11, 31, v10
	s_waitcnt vmcnt(0)
	v_ashrrev_i32_e32 v13, 31, v12
	v_lshl_add_u64 v[6:7], v[12:13], 1, s[14:15]
	v_lshl_add_u64 v[8:9], v[10:11], 1, s[14:15]
	global_load_ushort v10, v[6:7], off
	global_load_ushort v11, v[8:9], off
	s_waitcnt vmcnt(1)
	global_store_short v[2:3], v10, off
	s_waitcnt vmcnt(1)
	global_store_short v[4:5], v11, off
	s_cbranch_scc1 .LBB0_7
; %bb.8:                                ;   in Loop: Header=BB0_3 Depth=1
	v_mov_b32_e32 v3, s26
	v_mov_b32_e32 v2, s27
	s_orn2_b64 s[20:21], s[8:9], exec
.LBB0_9:                                ;   in Loop: Header=BB0_3 Depth=1
	s_or_b64 exec, exec, s[18:19]
	v_mov_b32_e32 v4, s27
	s_and_saveexec_b64 s[18:19], s[20:21]
	s_cbranch_execz .LBB0_13
; %bb.10:                               ;   in Loop: Header=BB0_3 Depth=1
	v_sub_u32_e32 v3, s25, v3
	s_mov_b64 s[20:21], 0
.LBB0_11:                               ;   Parent Loop BB0_3 Depth=1
                                        ; =>  This Inner Loop Header: Depth=2
	v_add_u32_e32 v4, v0, v2
	v_ashrrev_i32_e32 v5, 31, v4
	v_lshl_add_u64 v[6:7], v[4:5], 2, s[6:7]
	global_load_dword v6, v[6:7], off
	v_add_u32_e32 v3, -1, v3
	v_cmp_eq_u32_e32 vcc, 0, v3
	v_add_u32_e32 v2, 0x100, v2
	v_lshl_add_u64 v[4:5], v[4:5], 1, s[16:17]
	s_or_b64 s[20:21], vcc, s[20:21]
	s_waitcnt vmcnt(0)
	v_ashrrev_i32_e32 v7, 31, v6
	v_lshl_add_u64 v[6:7], v[6:7], 1, s[14:15]
	global_load_ushort v6, v[6:7], off
	s_waitcnt vmcnt(0)
	global_store_short v[4:5], v6, off
	s_andn2_b64 exec, exec, s[20:21]
	s_cbranch_execnz .LBB0_11
; %bb.12:                               ;   in Loop: Header=BB0_3 Depth=1
	s_or_b64 exec, exec, s[20:21]
	v_mov_b32_e32 v4, v2
.LBB0_13:                               ;   in Loop: Header=BB0_3 Depth=1
	s_or_b64 exec, exec, s[18:19]
	s_and_saveexec_b64 s[18:19], s[0:1]
	s_cbranch_execz .LBB0_2
.LBB0_14:                               ;   in Loop: Header=BB0_3 Depth=1
	v_add_u32_e32 v2, v4, v0
	v_ashrrev_i32_e32 v3, 31, v2
	v_lshl_add_u64 v[4:5], v[2:3], 2, s[6:7]
	global_load_dword v4, v[4:5], off
	v_lshl_add_u64 v[2:3], v[2:3], 1, s[16:17]
	s_waitcnt vmcnt(0)
	v_ashrrev_i32_e32 v5, 31, v4
	v_lshl_add_u64 v[4:5], v[4:5], 1, s[14:15]
	global_load_ushort v4, v[4:5], off
	s_waitcnt vmcnt(0)
	global_store_short v[2:3], v4, off
	s_branch .LBB0_2
.LBB0_15:
	s_endpgm
	.section	.rodata,"a",@progbits
	.p2align	6, 0x0
	.amdhsa_kernel _Z19permute_cols_kernelPK15HIP_vector_typeIiLj4EEPKiPS0_iii
		.amdhsa_group_segment_fixed_size 0
		.amdhsa_private_segment_fixed_size 0
		.amdhsa_kernarg_size 36
		.amdhsa_user_sgpr_count 2
		.amdhsa_user_sgpr_dispatch_ptr 0
		.amdhsa_user_sgpr_queue_ptr 0
		.amdhsa_user_sgpr_kernarg_segment_ptr 1
		.amdhsa_user_sgpr_dispatch_id 0
		.amdhsa_user_sgpr_kernarg_preload_length 0
		.amdhsa_user_sgpr_kernarg_preload_offset 0
		.amdhsa_user_sgpr_private_segment_size 0
		.amdhsa_uses_dynamic_stack 0
		.amdhsa_enable_private_segment 0
		.amdhsa_system_sgpr_workgroup_id_x 1
		.amdhsa_system_sgpr_workgroup_id_y 0
		.amdhsa_system_sgpr_workgroup_id_z 0
		.amdhsa_system_sgpr_workgroup_info 0
		.amdhsa_system_vgpr_workitem_id 0
		.amdhsa_next_free_vgpr 14
		.amdhsa_next_free_sgpr 30
		.amdhsa_accum_offset 16
		.amdhsa_reserve_vcc 1
		.amdhsa_float_round_mode_32 0
		.amdhsa_float_round_mode_16_64 0
		.amdhsa_float_denorm_mode_32 3
		.amdhsa_float_denorm_mode_16_64 3
		.amdhsa_dx10_clamp 1
		.amdhsa_ieee_mode 1
		.amdhsa_fp16_overflow 0
		.amdhsa_tg_split 0
		.amdhsa_exception_fp_ieee_invalid_op 0
		.amdhsa_exception_fp_denorm_src 0
		.amdhsa_exception_fp_ieee_div_zero 0
		.amdhsa_exception_fp_ieee_overflow 0
		.amdhsa_exception_fp_ieee_underflow 0
		.amdhsa_exception_fp_ieee_inexact 0
		.amdhsa_exception_int_div_zero 0
	.end_amdhsa_kernel
	.text
.Lfunc_end0:
	.size	_Z19permute_cols_kernelPK15HIP_vector_typeIiLj4EEPKiPS0_iii, .Lfunc_end0-_Z19permute_cols_kernelPK15HIP_vector_typeIiLj4EEPKiPS0_iii
                                        ; -- End function
	.set _Z19permute_cols_kernelPK15HIP_vector_typeIiLj4EEPKiPS0_iii.num_vgpr, 14
	.set _Z19permute_cols_kernelPK15HIP_vector_typeIiLj4EEPKiPS0_iii.num_agpr, 0
	.set _Z19permute_cols_kernelPK15HIP_vector_typeIiLj4EEPKiPS0_iii.numbered_sgpr, 30
	.set _Z19permute_cols_kernelPK15HIP_vector_typeIiLj4EEPKiPS0_iii.num_named_barrier, 0
	.set _Z19permute_cols_kernelPK15HIP_vector_typeIiLj4EEPKiPS0_iii.private_seg_size, 0
	.set _Z19permute_cols_kernelPK15HIP_vector_typeIiLj4EEPKiPS0_iii.uses_vcc, 1
	.set _Z19permute_cols_kernelPK15HIP_vector_typeIiLj4EEPKiPS0_iii.uses_flat_scratch, 0
	.set _Z19permute_cols_kernelPK15HIP_vector_typeIiLj4EEPKiPS0_iii.has_dyn_sized_stack, 0
	.set _Z19permute_cols_kernelPK15HIP_vector_typeIiLj4EEPKiPS0_iii.has_recursion, 0
	.set _Z19permute_cols_kernelPK15HIP_vector_typeIiLj4EEPKiPS0_iii.has_indirect_call, 0
	.section	.AMDGPU.csdata,"",@progbits
; Kernel info:
; codeLenInByte = 688
; TotalNumSgprs: 36
; NumVgprs: 14
; NumAgprs: 0
; TotalNumVgprs: 14
; ScratchSize: 0
; MemoryBound: 0
; FloatMode: 240
; IeeeMode: 1
; LDSByteSize: 0 bytes/workgroup (compile time only)
; SGPRBlocks: 4
; VGPRBlocks: 1
; NumSGPRsForWavesPerEU: 36
; NumVGPRsForWavesPerEU: 14
; AccumOffset: 16
; Occupancy: 8
; WaveLimiterHint : 1
; COMPUTE_PGM_RSRC2:SCRATCH_EN: 0
; COMPUTE_PGM_RSRC2:USER_SGPR: 2
; COMPUTE_PGM_RSRC2:TRAP_HANDLER: 0
; COMPUTE_PGM_RSRC2:TGID_X_EN: 1
; COMPUTE_PGM_RSRC2:TGID_Y_EN: 0
; COMPUTE_PGM_RSRC2:TGID_Z_EN: 0
; COMPUTE_PGM_RSRC2:TIDIG_COMP_CNT: 0
; COMPUTE_PGM_RSRC3_GFX90A:ACCUM_OFFSET: 3
; COMPUTE_PGM_RSRC3_GFX90A:TG_SPLIT: 0
	.text
	.p2alignl 6, 3212836864
	.fill 256, 4, 3212836864
	.section	.AMDGPU.gpr_maximums,"",@progbits
	.set amdgpu.max_num_vgpr, 0
	.set amdgpu.max_num_agpr, 0
	.set amdgpu.max_num_sgpr, 0
	.text
	.type	__hip_cuid_ba5e8b4e1aa4621,@object ; @__hip_cuid_ba5e8b4e1aa4621
	.section	.bss,"aw",@nobits
	.globl	__hip_cuid_ba5e8b4e1aa4621
__hip_cuid_ba5e8b4e1aa4621:
	.byte	0                               ; 0x0
	.size	__hip_cuid_ba5e8b4e1aa4621, 1

	.ident	"AMD clang version 22.0.0git (https://github.com/RadeonOpenCompute/llvm-project roc-7.2.4 26084 f58b06dce1f9c15707c5f808fd002e18c2accf7e)"
	.section	".note.GNU-stack","",@progbits
	.addrsig
	.addrsig_sym __hip_cuid_ba5e8b4e1aa4621
	.amdgpu_metadata
---
amdhsa.kernels:
  - .agpr_count:     0
    .args:
      - .actual_access:  read_only
        .address_space:  global
        .offset:         0
        .size:           8
        .value_kind:     global_buffer
      - .actual_access:  read_only
        .address_space:  global
        .offset:         8
        .size:           8
        .value_kind:     global_buffer
      - .actual_access:  write_only
        .address_space:  global
        .offset:         16
        .size:           8
        .value_kind:     global_buffer
      - .offset:         24
        .size:           4
        .value_kind:     by_value
      - .offset:         28
        .size:           4
        .value_kind:     by_value
      - .offset:         32
        .size:           4
        .value_kind:     by_value
    .group_segment_fixed_size: 0
    .kernarg_segment_align: 8
    .kernarg_segment_size: 36
    .language:       OpenCL C
    .language_version:
      - 2
      - 0
    .max_flat_workgroup_size: 1024
    .name:           _Z19permute_cols_kernelPK15HIP_vector_typeIiLj4EEPKiPS0_iii
    .private_segment_fixed_size: 0
    .sgpr_count:     36
    .sgpr_spill_count: 0
    .symbol:         _Z19permute_cols_kernelPK15HIP_vector_typeIiLj4EEPKiPS0_iii.kd
    .uniform_work_group_size: 1
    .uses_dynamic_stack: false
    .vgpr_count:     14
    .vgpr_spill_count: 0
    .wavefront_size: 64
amdhsa.target:   amdgcn-amd-amdhsa--gfx950
amdhsa.version:
  - 1
  - 2
...

	.end_amdgpu_metadata
